;; amdgpu-corpus repo=ROCm/rocFFT kind=compiled arch=gfx1030 opt=O3
	.text
	.amdgcn_target "amdgcn-amd-amdhsa--gfx1030"
	.amdhsa_code_object_version 6
	.protected	fft_rtc_fwd_len1470_factors_2_3_5_7_7_wgs_210_tpt_210_halfLds_dp_ip_CI_unitstride_sbrr_dirReg ; -- Begin function fft_rtc_fwd_len1470_factors_2_3_5_7_7_wgs_210_tpt_210_halfLds_dp_ip_CI_unitstride_sbrr_dirReg
	.globl	fft_rtc_fwd_len1470_factors_2_3_5_7_7_wgs_210_tpt_210_halfLds_dp_ip_CI_unitstride_sbrr_dirReg
	.p2align	8
	.type	fft_rtc_fwd_len1470_factors_2_3_5_7_7_wgs_210_tpt_210_halfLds_dp_ip_CI_unitstride_sbrr_dirReg,@function
fft_rtc_fwd_len1470_factors_2_3_5_7_7_wgs_210_tpt_210_halfLds_dp_ip_CI_unitstride_sbrr_dirReg: ; @fft_rtc_fwd_len1470_factors_2_3_5_7_7_wgs_210_tpt_210_halfLds_dp_ip_CI_unitstride_sbrr_dirReg
; %bb.0:
	s_clause 0x2
	s_load_dwordx4 s[8:11], s[4:5], 0x0
	s_load_dwordx2 s[2:3], s[4:5], 0x50
	s_load_dwordx2 s[12:13], s[4:5], 0x18
	v_mul_u32_u24_e32 v1, 0x139, v0
	v_mov_b32_e32 v3, 0
	v_add_nc_u32_sdwa v5, s6, v1 dst_sel:DWORD dst_unused:UNUSED_PAD src0_sel:DWORD src1_sel:WORD_1
	v_mov_b32_e32 v1, 0
	v_mov_b32_e32 v6, v3
	v_mov_b32_e32 v2, 0
	s_waitcnt lgkmcnt(0)
	v_cmp_lt_u64_e64 s0, s[10:11], 2
	s_and_b32 vcc_lo, exec_lo, s0
	s_cbranch_vccnz .LBB0_8
; %bb.1:
	s_load_dwordx2 s[0:1], s[4:5], 0x10
	v_mov_b32_e32 v1, 0
	s_add_u32 s6, s12, 8
	v_mov_b32_e32 v2, 0
	s_addc_u32 s7, s13, 0
	s_mov_b64 s[16:17], 1
	s_waitcnt lgkmcnt(0)
	s_add_u32 s14, s0, 8
	s_addc_u32 s15, s1, 0
.LBB0_2:                                ; =>This Inner Loop Header: Depth=1
	s_load_dwordx2 s[18:19], s[14:15], 0x0
                                        ; implicit-def: $vgpr7_vgpr8
	s_mov_b32 s0, exec_lo
	s_waitcnt lgkmcnt(0)
	v_or_b32_e32 v4, s19, v6
	v_cmpx_ne_u64_e32 0, v[3:4]
	s_xor_b32 s1, exec_lo, s0
	s_cbranch_execz .LBB0_4
; %bb.3:                                ;   in Loop: Header=BB0_2 Depth=1
	v_cvt_f32_u32_e32 v4, s18
	v_cvt_f32_u32_e32 v7, s19
	s_sub_u32 s0, 0, s18
	s_subb_u32 s20, 0, s19
	v_fmac_f32_e32 v4, 0x4f800000, v7
	v_rcp_f32_e32 v4, v4
	v_mul_f32_e32 v4, 0x5f7ffffc, v4
	v_mul_f32_e32 v7, 0x2f800000, v4
	v_trunc_f32_e32 v7, v7
	v_fmac_f32_e32 v4, 0xcf800000, v7
	v_cvt_u32_f32_e32 v7, v7
	v_cvt_u32_f32_e32 v4, v4
	v_mul_lo_u32 v8, s0, v7
	v_mul_hi_u32 v9, s0, v4
	v_mul_lo_u32 v10, s20, v4
	v_add_nc_u32_e32 v8, v9, v8
	v_mul_lo_u32 v9, s0, v4
	v_add_nc_u32_e32 v8, v8, v10
	v_mul_hi_u32 v10, v4, v9
	v_mul_lo_u32 v11, v4, v8
	v_mul_hi_u32 v12, v4, v8
	v_mul_hi_u32 v13, v7, v9
	v_mul_lo_u32 v9, v7, v9
	v_mul_hi_u32 v14, v7, v8
	v_mul_lo_u32 v8, v7, v8
	v_add_co_u32 v10, vcc_lo, v10, v11
	v_add_co_ci_u32_e32 v11, vcc_lo, 0, v12, vcc_lo
	v_add_co_u32 v9, vcc_lo, v10, v9
	v_add_co_ci_u32_e32 v9, vcc_lo, v11, v13, vcc_lo
	v_add_co_ci_u32_e32 v10, vcc_lo, 0, v14, vcc_lo
	v_add_co_u32 v8, vcc_lo, v9, v8
	v_add_co_ci_u32_e32 v9, vcc_lo, 0, v10, vcc_lo
	v_add_co_u32 v4, vcc_lo, v4, v8
	v_add_co_ci_u32_e32 v7, vcc_lo, v7, v9, vcc_lo
	v_mul_hi_u32 v8, s0, v4
	v_mul_lo_u32 v10, s20, v4
	v_mul_lo_u32 v9, s0, v7
	v_add_nc_u32_e32 v8, v8, v9
	v_mul_lo_u32 v9, s0, v4
	v_add_nc_u32_e32 v8, v8, v10
	v_mul_hi_u32 v10, v4, v9
	v_mul_lo_u32 v11, v4, v8
	v_mul_hi_u32 v12, v4, v8
	v_mul_hi_u32 v13, v7, v9
	v_mul_lo_u32 v9, v7, v9
	v_mul_hi_u32 v14, v7, v8
	v_mul_lo_u32 v8, v7, v8
	v_add_co_u32 v10, vcc_lo, v10, v11
	v_add_co_ci_u32_e32 v11, vcc_lo, 0, v12, vcc_lo
	v_add_co_u32 v9, vcc_lo, v10, v9
	v_add_co_ci_u32_e32 v9, vcc_lo, v11, v13, vcc_lo
	v_add_co_ci_u32_e32 v10, vcc_lo, 0, v14, vcc_lo
	v_add_co_u32 v8, vcc_lo, v9, v8
	v_add_co_ci_u32_e32 v9, vcc_lo, 0, v10, vcc_lo
	v_add_co_u32 v4, vcc_lo, v4, v8
	v_add_co_ci_u32_e32 v11, vcc_lo, v7, v9, vcc_lo
	v_mul_hi_u32 v13, v5, v4
	v_mad_u64_u32 v[9:10], null, v6, v4, 0
	v_mad_u64_u32 v[7:8], null, v5, v11, 0
	;; [unrolled: 1-line block ×3, first 2 shown]
	v_add_co_u32 v4, vcc_lo, v13, v7
	v_add_co_ci_u32_e32 v7, vcc_lo, 0, v8, vcc_lo
	v_add_co_u32 v4, vcc_lo, v4, v9
	v_add_co_ci_u32_e32 v4, vcc_lo, v7, v10, vcc_lo
	v_add_co_ci_u32_e32 v7, vcc_lo, 0, v12, vcc_lo
	v_add_co_u32 v4, vcc_lo, v4, v11
	v_add_co_ci_u32_e32 v9, vcc_lo, 0, v7, vcc_lo
	v_mul_lo_u32 v10, s19, v4
	v_mad_u64_u32 v[7:8], null, s18, v4, 0
	v_mul_lo_u32 v11, s18, v9
	v_sub_co_u32 v7, vcc_lo, v5, v7
	v_add3_u32 v8, v8, v11, v10
	v_sub_nc_u32_e32 v10, v6, v8
	v_subrev_co_ci_u32_e64 v10, s0, s19, v10, vcc_lo
	v_add_co_u32 v11, s0, v4, 2
	v_add_co_ci_u32_e64 v12, s0, 0, v9, s0
	v_sub_co_u32 v13, s0, v7, s18
	v_sub_co_ci_u32_e32 v8, vcc_lo, v6, v8, vcc_lo
	v_subrev_co_ci_u32_e64 v10, s0, 0, v10, s0
	v_cmp_le_u32_e32 vcc_lo, s18, v13
	v_cmp_eq_u32_e64 s0, s19, v8
	v_cndmask_b32_e64 v13, 0, -1, vcc_lo
	v_cmp_le_u32_e32 vcc_lo, s19, v10
	v_cndmask_b32_e64 v14, 0, -1, vcc_lo
	v_cmp_le_u32_e32 vcc_lo, s18, v7
	;; [unrolled: 2-line block ×3, first 2 shown]
	v_cndmask_b32_e64 v15, 0, -1, vcc_lo
	v_cmp_eq_u32_e32 vcc_lo, s19, v10
	v_cndmask_b32_e64 v7, v15, v7, s0
	v_cndmask_b32_e32 v10, v14, v13, vcc_lo
	v_add_co_u32 v13, vcc_lo, v4, 1
	v_add_co_ci_u32_e32 v14, vcc_lo, 0, v9, vcc_lo
	v_cmp_ne_u32_e32 vcc_lo, 0, v10
	v_cndmask_b32_e32 v8, v14, v12, vcc_lo
	v_cndmask_b32_e32 v10, v13, v11, vcc_lo
	v_cmp_ne_u32_e32 vcc_lo, 0, v7
	v_cndmask_b32_e32 v8, v9, v8, vcc_lo
	v_cndmask_b32_e32 v7, v4, v10, vcc_lo
.LBB0_4:                                ;   in Loop: Header=BB0_2 Depth=1
	s_andn2_saveexec_b32 s0, s1
	s_cbranch_execz .LBB0_6
; %bb.5:                                ;   in Loop: Header=BB0_2 Depth=1
	v_cvt_f32_u32_e32 v4, s18
	s_sub_i32 s1, 0, s18
	v_rcp_iflag_f32_e32 v4, v4
	v_mul_f32_e32 v4, 0x4f7ffffe, v4
	v_cvt_u32_f32_e32 v4, v4
	v_mul_lo_u32 v7, s1, v4
	v_mul_hi_u32 v7, v4, v7
	v_add_nc_u32_e32 v4, v4, v7
	v_mul_hi_u32 v4, v5, v4
	v_mul_lo_u32 v7, v4, s18
	v_add_nc_u32_e32 v8, 1, v4
	v_sub_nc_u32_e32 v7, v5, v7
	v_subrev_nc_u32_e32 v9, s18, v7
	v_cmp_le_u32_e32 vcc_lo, s18, v7
	v_cndmask_b32_e32 v7, v7, v9, vcc_lo
	v_cndmask_b32_e32 v4, v4, v8, vcc_lo
	v_cmp_le_u32_e32 vcc_lo, s18, v7
	v_add_nc_u32_e32 v8, 1, v4
	v_cndmask_b32_e32 v7, v4, v8, vcc_lo
	v_mov_b32_e32 v8, v3
.LBB0_6:                                ;   in Loop: Header=BB0_2 Depth=1
	s_or_b32 exec_lo, exec_lo, s0
	s_load_dwordx2 s[0:1], s[6:7], 0x0
	v_mul_lo_u32 v4, v8, s18
	v_mul_lo_u32 v11, v7, s19
	v_mad_u64_u32 v[9:10], null, v7, s18, 0
	s_add_u32 s16, s16, 1
	s_addc_u32 s17, s17, 0
	s_add_u32 s6, s6, 8
	s_addc_u32 s7, s7, 0
	;; [unrolled: 2-line block ×3, first 2 shown]
	v_add3_u32 v4, v10, v11, v4
	v_sub_co_u32 v5, vcc_lo, v5, v9
	v_sub_co_ci_u32_e32 v4, vcc_lo, v6, v4, vcc_lo
	s_waitcnt lgkmcnt(0)
	v_mul_lo_u32 v6, s1, v5
	v_mul_lo_u32 v4, s0, v4
	v_mad_u64_u32 v[1:2], null, s0, v5, v[1:2]
	v_cmp_ge_u64_e64 s0, s[16:17], s[10:11]
	s_and_b32 vcc_lo, exec_lo, s0
	v_add3_u32 v2, v6, v2, v4
	s_cbranch_vccnz .LBB0_9
; %bb.7:                                ;   in Loop: Header=BB0_2 Depth=1
	v_mov_b32_e32 v5, v7
	v_mov_b32_e32 v6, v8
	s_branch .LBB0_2
.LBB0_8:
	v_mov_b32_e32 v8, v6
	v_mov_b32_e32 v7, v5
.LBB0_9:
	s_lshl_b64 s[0:1], s[10:11], 3
	v_mul_hi_u32 v3, 0x1381382, v0
	s_add_u32 s0, s12, s0
	s_addc_u32 s1, s13, s1
	v_mov_b32_e32 v50, 0
	s_load_dwordx2 s[0:1], s[0:1], 0x0
	s_load_dwordx2 s[4:5], s[4:5], 0x20
                                        ; implicit-def: $vgpr34_vgpr35
                                        ; implicit-def: $vgpr26_vgpr27
                                        ; implicit-def: $vgpr10_vgpr11
                                        ; implicit-def: $vgpr22_vgpr23
                                        ; implicit-def: $vgpr14_vgpr15
                                        ; implicit-def: $vgpr30_vgpr31
                                        ; implicit-def: $vgpr18_vgpr19
	v_mul_u32_u24_e32 v3, 0xd2, v3
	v_sub_nc_u32_e32 v51, v0, v3
	s_waitcnt lgkmcnt(0)
	v_mul_lo_u32 v4, s0, v8
	v_mul_lo_u32 v5, s1, v7
	v_mad_u64_u32 v[1:2], null, s0, v7, v[1:2]
	v_cmp_gt_u64_e32 vcc_lo, s[4:5], v[7:8]
	v_add3_u32 v2, v5, v2, v4
	v_lshlrev_b64 v[48:49], 4, v[1:2]
                                        ; implicit-def: $vgpr2_vgpr3
	s_and_saveexec_b32 s1, vcc_lo
	s_cbranch_execz .LBB0_13
; %bb.10:
	v_mov_b32_e32 v52, 0
	v_add_co_u32 v2, s0, s2, v48
	v_add_co_ci_u32_e64 v3, s0, s3, v49, s0
	v_lshlrev_b64 v[0:1], 4, v[51:52]
	s_mov_b32 s4, exec_lo
                                        ; implicit-def: $vgpr32_vgpr33
	v_add_co_u32 v4, s0, v2, v0
	v_add_co_ci_u32_e64 v5, s0, v3, v1, s0
	v_add_co_u32 v0, s0, 0x2800, v4
	v_add_co_ci_u32_e64 v1, s0, 0, v5, s0
	;; [unrolled: 2-line block ×6, first 2 shown]
	s_clause 0x5
	global_load_dwordx4 v[16:19], v[4:5], off
	global_load_dwordx4 v[28:31], v[0:1], off offset:1520
	global_load_dwordx4 v[12:15], v[2:3], off offset:1312
	;; [unrolled: 1-line block ×5, first 2 shown]
                                        ; implicit-def: $vgpr24_vgpr25
	v_cmpx_gt_u32_e32 0x69, v51
; %bb.11:
	v_add_co_u32 v6, s0, 0x2000, v4
	v_add_co_ci_u32_e64 v7, s0, 0, v5, s0
	v_add_co_u32 v4, s0, 0x5000, v4
	v_add_co_ci_u32_e64 v5, s0, 0, v5, s0
	s_clause 0x1
	global_load_dwordx4 v[24:27], v[6:7], off offset:1888
	global_load_dwordx4 v[32:35], v[4:5], off offset:1360
; %bb.12:
	s_or_b32 exec_lo, exec_lo, s4
	v_mov_b32_e32 v50, v51
.LBB0_13:
	s_or_b32 exec_lo, exec_lo, s1
	s_waitcnt vmcnt(4)
	v_add_f64 v[38:39], v[16:17], -v[28:29]
	s_waitcnt vmcnt(0)
	v_add_f64 v[6:7], v[24:25], -v[32:33]
	v_add_f64 v[42:43], v[12:13], -v[20:21]
	;; [unrolled: 1-line block ×3, first 2 shown]
	v_add_nc_u32_e32 v57, 0xd2, v51
	v_add_nc_u32_e32 v32, 0x1a4, v51
	;; [unrolled: 1-line block ×3, first 2 shown]
	v_cmp_gt_u32_e64 s0, 0x69, v51
	v_fma_f64 v[36:37], v[16:17], 2.0, -v[38:39]
	v_fma_f64 v[4:5], v[24:25], 2.0, -v[6:7]
	;; [unrolled: 1-line block ×4, first 2 shown]
	v_lshl_add_u32 v13, v51, 4, 0
	v_lshl_add_u32 v12, v57, 4, 0
	;; [unrolled: 1-line block ×4, first 2 shown]
	ds_write_b128 v13, v[36:39]
	ds_write_b128 v12, v[40:43]
	;; [unrolled: 1-line block ×3, first 2 shown]
	s_and_saveexec_b32 s1, s0
	s_cbranch_execz .LBB0_15
; %bb.14:
	ds_write_b128 v8, v[4:7]
.LBB0_15:
	s_or_b32 exec_lo, exec_lo, s1
	v_lshlrev_b32_e32 v0, 3, v51
	s_waitcnt lgkmcnt(0)
	s_barrier
	buffer_gl0_inv
	v_cmp_gt_u32_e64 s1, 0x46, v51
	v_sub_nc_u32_e32 v1, v13, v0
	v_sub_nc_u32_e32 v0, 0, v0
                                        ; implicit-def: $vgpr20_vgpr21
	v_add_nc_u32_e32 v16, 0xe00, v1
	v_add_nc_u32_e32 v17, 0x1e00, v1
	;; [unrolled: 1-line block ×3, first 2 shown]
	ds_read2_b64 v[36:39], v1 offset1:210
	ds_read2_b64 v[40:43], v16 offset0:42 offset1:252
	ds_read2_b64 v[44:47], v17 offset0:20 offset1:230
	s_and_saveexec_b32 s4, s1
	s_cbranch_execz .LBB0_17
; %bb.16:
	ds_read_b64 v[4:5], v56 offset:3360
	ds_read_b64 v[6:7], v56 offset:7280
	;; [unrolled: 1-line block ×3, first 2 shown]
.LBB0_17:
	s_or_b32 exec_lo, exec_lo, s4
	v_add_f64 v[24:25], v[18:19], -v[30:31]
	v_add_f64 v[30:31], v[10:11], -v[2:3]
	;; [unrolled: 1-line block ×4, first 2 shown]
	s_waitcnt lgkmcnt(0)
	s_barrier
	buffer_gl0_inv
	v_fma_f64 v[22:23], v[18:19], 2.0, -v[24:25]
	v_fma_f64 v[28:29], v[10:11], 2.0, -v[30:31]
	;; [unrolled: 1-line block ×4, first 2 shown]
	ds_write_b128 v13, v[22:25]
	ds_write_b128 v12, v[14:17]
	;; [unrolled: 1-line block ×3, first 2 shown]
	s_and_saveexec_b32 s4, s0
	s_cbranch_execz .LBB0_19
; %bb.18:
	ds_write_b128 v8, v[0:3]
.LBB0_19:
	s_or_b32 exec_lo, exec_lo, s4
	v_add_nc_u32_e32 v12, 0xe00, v56
	v_add_nc_u32_e32 v16, 0x1e00, v56
	s_waitcnt lgkmcnt(0)
	s_barrier
	buffer_gl0_inv
	ds_read2_b64 v[8:11], v56 offset1:210
	ds_read2_b64 v[12:15], v12 offset0:42 offset1:252
	ds_read2_b64 v[16:19], v16 offset0:20 offset1:230
                                        ; implicit-def: $vgpr24_vgpr25
	s_and_saveexec_b32 s0, s1
	s_cbranch_execz .LBB0_21
; %bb.20:
	ds_read_b64 v[0:1], v56 offset:3360
	ds_read_b64 v[2:3], v56 offset:7280
	;; [unrolled: 1-line block ×3, first 2 shown]
.LBB0_21:
	s_or_b32 exec_lo, exec_lo, s0
	v_and_b32_e32 v58, 1, v51
	s_mov_b32 s4, 0xe8584caa
	s_mov_b32 s5, 0x3febb67a
	;; [unrolled: 1-line block ×4, first 2 shown]
	v_lshlrev_b32_e32 v22, 5, v58
	s_clause 0x1
	global_load_dwordx4 v[26:29], v22, s[8:9]
	global_load_dwordx4 v[59:62], v22, s[8:9] offset:16
	s_waitcnt vmcnt(0) lgkmcnt(0)
	s_barrier
	buffer_gl0_inv
	v_mul_f64 v[22:23], v[12:13], v[28:29]
	v_mul_f64 v[30:31], v[16:17], v[61:62]
	;; [unrolled: 1-line block ×12, first 2 shown]
	v_fma_f64 v[40:41], v[40:41], v[26:27], -v[22:23]
	v_fma_f64 v[44:45], v[44:45], v[59:60], -v[30:31]
	v_fma_f64 v[28:29], v[42:43], v[26:27], -v[33:34]
	v_fma_f64 v[34:35], v[46:47], v[59:60], -v[52:53]
	v_fma_f64 v[22:23], v[20:21], v[59:60], -v[54:55]
	v_fma_f64 v[30:31], v[6:7], v[26:27], -v[63:64]
	v_fma_f64 v[42:43], v[12:13], v[26:27], v[65:66]
	v_fma_f64 v[46:47], v[14:15], v[26:27], v[67:68]
	;; [unrolled: 1-line block ×6, first 2 shown]
	v_lshrrev_b32_e32 v33, 1, v51
	v_mul_u32_u24_e32 v33, 6, v33
	v_or_b32_e32 v33, v33, v58
	v_add_f64 v[6:7], v[40:41], v[44:45]
	v_add_f64 v[16:17], v[36:37], v[40:41]
	;; [unrolled: 1-line block ×6, first 2 shown]
	v_add_f64 v[18:19], v[42:43], -v[12:13]
	v_fma_f64 v[6:7], v[6:7], -0.5, v[36:37]
	v_add_f64 v[36:37], v[46:47], -v[20:21]
	v_fma_f64 v[2:3], v[2:3], -0.5, v[38:39]
	v_add_f64 v[38:39], v[52:53], -v[54:55]
	v_fma_f64 v[4:5], v[14:15], -0.5, v[4:5]
	v_add_f64 v[16:17], v[16:17], v[44:45]
	v_add_f64 v[14:15], v[26:27], v[22:23]
	;; [unrolled: 1-line block ×3, first 2 shown]
	v_fma_f64 v[26:27], v[18:19], s[4:5], v[6:7]
	v_fma_f64 v[18:19], v[18:19], s[6:7], v[6:7]
	;; [unrolled: 1-line block ×6, first 2 shown]
	v_lshrrev_b32_e32 v36, 1, v57
	v_lshrrev_b32_e32 v38, 1, v32
	v_lshl_add_u32 v39, v33, 3, 0
	v_mul_u32_u24_e32 v36, 6, v36
	v_or_b32_e32 v36, v36, v58
	v_lshl_add_u32 v59, v36, 3, 0
	ds_write2_b64 v39, v[16:17], v[26:27] offset1:2
	ds_write_b64 v39, v[18:19] offset:32
	ds_write2_b64 v59, v[24:25], v[60:61] offset1:2
	ds_write_b64 v59, v[2:3] offset:32
	s_and_saveexec_b32 s0, s1
	s_cbranch_execz .LBB0_23
; %bb.22:
	v_mul_u32_u24_e32 v16, 6, v38
	v_or_b32_e32 v16, v16, v58
	v_lshl_add_u32 v16, v16, 3, 0
	ds_write2_b64 v16, v[14:15], v[6:7] offset1:2
	ds_write_b64 v16, v[4:5] offset:32
.LBB0_23:
	s_or_b32 exec_lo, exec_lo, s0
	s_waitcnt lgkmcnt(0)
	s_barrier
	buffer_gl0_inv
	ds_read_b64 v[18:19], v56
	ds_read_b64 v[26:27], v56 offset:2352
	ds_read_b64 v[24:25], v56 offset:4704
	;; [unrolled: 1-line block ×4, first 2 shown]
	v_cmp_gt_u32_e64 s0, 0x54, v51
                                        ; implicit-def: $vgpr16_vgpr17
	s_and_saveexec_b32 s4, s0
	s_cbranch_execz .LBB0_25
; %bb.24:
	ds_read_b64 v[2:3], v56 offset:1680
	ds_read_b64 v[14:15], v56 offset:4032
	;; [unrolled: 1-line block ×5, first 2 shown]
.LBB0_25:
	s_or_b32 exec_lo, exec_lo, s4
	v_add_f64 v[60:61], v[42:43], v[12:13]
	v_add_f64 v[62:63], v[46:47], v[20:21]
	;; [unrolled: 1-line block ×4, first 2 shown]
	v_add_f64 v[40:41], v[40:41], -v[44:45]
	v_add_f64 v[44:45], v[10:11], v[46:47]
	v_add_f64 v[46:47], v[0:1], v[52:53]
	v_add_f64 v[28:29], v[28:29], -v[34:35]
	v_add_f64 v[30:31], v[30:31], -v[22:23]
	s_mov_b32 s4, 0xe8584caa
	s_mov_b32 s5, 0xbfebb67a
	;; [unrolled: 1-line block ×4, first 2 shown]
	s_waitcnt lgkmcnt(0)
	s_barrier
	buffer_gl0_inv
	v_fma_f64 v[8:9], v[60:61], -0.5, v[8:9]
	v_fma_f64 v[10:11], v[62:63], -0.5, v[10:11]
	;; [unrolled: 1-line block ×3, first 2 shown]
	v_add_f64 v[34:35], v[42:43], v[12:13]
	v_add_f64 v[20:21], v[44:45], v[20:21]
	;; [unrolled: 1-line block ×3, first 2 shown]
	v_fma_f64 v[42:43], v[40:41], s[4:5], v[8:9]
	v_fma_f64 v[40:41], v[40:41], s[6:7], v[8:9]
	;; [unrolled: 1-line block ×6, first 2 shown]
	ds_write2_b64 v39, v[34:35], v[42:43] offset1:2
	ds_write_b64 v39, v[40:41] offset:32
	ds_write2_b64 v59, v[20:21], v[44:45] offset1:2
	ds_write_b64 v59, v[12:13] offset:32
	s_and_saveexec_b32 s4, s1
	s_cbranch_execz .LBB0_27
; %bb.26:
	v_mul_u32_u24_e32 v0, 6, v38
	v_or_b32_e32 v0, v0, v58
	v_lshl_add_u32 v0, v0, 3, 0
	ds_write2_b64 v0, v[22:23], v[10:11] offset1:2
	ds_write_b64 v0, v[8:9] offset:32
.LBB0_27:
	s_or_b32 exec_lo, exec_lo, s4
	s_waitcnt lgkmcnt(0)
	s_barrier
	buffer_gl0_inv
	ds_read_b64 v[0:1], v56
	ds_read_b64 v[38:39], v56 offset:2352
	ds_read_b64 v[30:31], v56 offset:4704
	;; [unrolled: 1-line block ×4, first 2 shown]
                                        ; implicit-def: $vgpr20_vgpr21
	s_and_saveexec_b32 s1, s0
	s_cbranch_execz .LBB0_29
; %bb.28:
	ds_read_b64 v[12:13], v56 offset:1680
	ds_read_b64 v[22:23], v56 offset:4032
	;; [unrolled: 1-line block ×5, first 2 shown]
.LBB0_29:
	s_or_b32 exec_lo, exec_lo, s1
	v_and_b32_e32 v52, 0xff, v51
	v_mov_b32_e32 v29, 6
	s_mov_b32 s4, 0x134454ff
	s_mov_b32 s5, 0x3fee6f0e
	;; [unrolled: 1-line block ×3, first 2 shown]
	v_mul_lo_u16 v28, 0xab, v52
	s_mov_b32 s6, s4
	s_mov_b32 s12, 0x4755a5e
	;; [unrolled: 1-line block ×4, first 2 shown]
	v_lshrrev_b16 v86, 10, v28
	s_mov_b32 s14, s12
	s_mov_b32 s10, 0x372fe950
	;; [unrolled: 1-line block ×3, first 2 shown]
	v_mul_lo_u16 v28, v86, 6
	v_sub_nc_u16 v87, v51, v28
	v_lshlrev_b32_sdwa v28, v29, v87 dst_sel:DWORD dst_unused:UNUSED_PAD src0_sel:DWORD src1_sel:BYTE_0
	s_clause 0x3
	global_load_dwordx4 v[44:47], v28, s[8:9] offset:80
	global_load_dwordx4 v[58:61], v28, s[8:9] offset:96
	;; [unrolled: 1-line block ×4, first 2 shown]
	v_mov_b32_e32 v28, 0xaaab
	v_mul_u32_u24_sdwa v28, v57, v28 dst_sel:DWORD dst_unused:UNUSED_PAD src0_sel:WORD_0 src1_sel:DWORD
	v_lshrrev_b32_e32 v88, 18, v28
	v_mul_lo_u16 v28, v88, 6
	v_sub_nc_u16 v53, v57, v28
	v_lshlrev_b32_sdwa v28, v29, v53 dst_sel:DWORD dst_unused:UNUSED_PAD src0_sel:DWORD src1_sel:WORD_0
	s_clause 0x3
	global_load_dwordx4 v[70:73], v28, s[8:9] offset:64
	global_load_dwordx4 v[74:77], v28, s[8:9] offset:80
	global_load_dwordx4 v[78:81], v28, s[8:9] offset:96
	global_load_dwordx4 v[82:85], v28, s[8:9] offset:112
	s_waitcnt vmcnt(0) lgkmcnt(0)
	s_barrier
	buffer_gl0_inv
	v_mul_f64 v[28:29], v[30:31], v[46:47]
	v_mul_f64 v[34:35], v[38:39], v[64:65]
	v_fma_f64 v[28:29], v[24:25], v[44:45], -v[28:29]
	v_mul_f64 v[24:25], v[24:25], v[46:47]
	v_mul_f64 v[46:47], v[32:33], v[60:61]
	v_fma_f64 v[24:25], v[30:31], v[44:45], v[24:25]
	v_mul_f64 v[30:31], v[42:43], v[60:61]
	v_mul_f64 v[44:45], v[40:41], v[68:69]
	v_fma_f64 v[30:31], v[32:33], v[58:59], -v[30:31]
	v_fma_f64 v[32:33], v[26:27], v[62:63], -v[34:35]
	;; [unrolled: 1-line block ×3, first 2 shown]
	v_mul_f64 v[44:45], v[26:27], v[64:65]
	v_mul_f64 v[36:37], v[36:37], v[68:69]
	v_fma_f64 v[26:27], v[42:43], v[58:59], v[46:47]
	v_mul_f64 v[46:47], v[14:15], v[72:73]
	v_add_f64 v[57:58], v[18:19], v[32:33]
	v_add_f64 v[42:43], v[32:33], v[34:35]
	v_fma_f64 v[44:45], v[38:39], v[62:63], v[44:45]
	v_fma_f64 v[36:37], v[40:41], v[66:67], v[36:37]
	v_add_f64 v[38:39], v[28:29], v[30:31]
	v_mul_f64 v[40:41], v[22:23], v[72:73]
	v_add_f64 v[54:55], v[24:25], -v[26:27]
	v_mul_f64 v[61:62], v[10:11], v[76:77]
	v_add_f64 v[63:64], v[30:31], -v[34:35]
	v_add_f64 v[57:58], v[57:58], v[28:29]
	v_fma_f64 v[42:43], v[42:43], -0.5, v[18:19]
	v_add_f64 v[59:60], v[44:45], -v[36:37]
	v_fma_f64 v[38:39], v[38:39], -0.5, v[18:19]
	v_fma_f64 v[18:19], v[14:15], v[70:71], -v[40:41]
	v_fma_f64 v[14:15], v[22:23], v[70:71], v[46:47]
	v_add_f64 v[22:23], v[32:33], -v[28:29]
	v_add_f64 v[40:41], v[34:35], -v[30:31]
	;; [unrolled: 1-line block ×3, first 2 shown]
	v_mul_f64 v[71:72], v[20:21], v[84:85]
	v_add_f64 v[57:58], v[57:58], v[30:31]
	v_fma_f64 v[65:66], v[54:55], s[6:7], v[42:43]
	v_fma_f64 v[42:43], v[54:55], s[4:5], v[42:43]
	;; [unrolled: 1-line block ×4, first 2 shown]
	v_fma_f64 v[38:39], v[6:7], v[74:75], -v[61:62]
	v_mul_f64 v[6:7], v[6:7], v[76:77]
	v_add_f64 v[61:62], v[22:23], v[40:41]
	v_mul_f64 v[22:23], v[8:9], v[80:81]
	v_add_f64 v[63:64], v[46:47], v[63:64]
	v_mul_f64 v[46:47], v[4:5], v[80:81]
	v_fma_f64 v[65:66], v[59:60], s[12:13], v[65:66]
	v_fma_f64 v[59:60], v[59:60], s[14:15], v[42:43]
	;; [unrolled: 1-line block ×4, first 2 shown]
	v_mul_f64 v[69:70], v[16:17], v[84:85]
	v_fma_f64 v[40:41], v[10:11], v[74:75], v[6:7]
	v_mov_b32_e32 v11, 0xf0
	v_fma_f64 v[42:43], v[4:5], v[78:79], -v[22:23]
	v_add_f64 v[5:6], v[57:58], v[34:35]
	v_fma_f64 v[22:23], v[8:9], v[78:79], v[46:47]
	v_fma_f64 v[46:47], v[16:17], v[82:83], -v[71:72]
	v_mov_b32_e32 v4, 3
	v_mul_u32_u24_sdwa v11, v86, v11 dst_sel:DWORD dst_unused:UNUSED_PAD src0_sel:WORD_0 src1_sel:DWORD
	v_fma_f64 v[9:10], v[63:64], s[10:11], v[65:66]
	v_fma_f64 v[57:58], v[63:64], s[10:11], v[59:60]
	;; [unrolled: 1-line block ×5, first 2 shown]
	v_lshlrev_b32_sdwa v20, v4, v87 dst_sel:DWORD dst_unused:UNUSED_PAD src0_sel:DWORD src1_sel:BYTE_0
	v_mul_lo_u16 v54, v88, 30
	v_add3_u32 v55, 0, v11, v20
	ds_write2_b64 v55, v[5:6], v[7:8] offset1:6
	ds_write2_b64 v55, v[9:10], v[57:58] offset0:12 offset1:18
	ds_write_b64 v55, v[59:60] offset:192
	s_and_saveexec_b32 s1, s0
	s_cbranch_execz .LBB0_31
; %bb.30:
	v_add_f64 v[5:6], v[18:19], v[46:47]
	v_add_f64 v[7:8], v[38:39], v[42:43]
	v_add_f64 v[20:21], v[14:15], -v[16:17]
	v_add_f64 v[57:58], v[2:3], v[18:19]
	v_add_f64 v[9:10], v[40:41], -v[22:23]
	v_add_f64 v[59:60], v[42:43], -v[46:47]
	;; [unrolled: 1-line block ×4, first 2 shown]
	v_fma_f64 v[5:6], v[5:6], -0.5, v[2:3]
	v_fma_f64 v[2:3], v[7:8], -0.5, v[2:3]
	v_add_f64 v[7:8], v[38:39], -v[18:19]
	v_add_f64 v[57:58], v[57:58], v[38:39]
	v_fma_f64 v[65:66], v[9:10], s[4:5], v[5:6]
	v_fma_f64 v[67:68], v[20:21], s[4:5], v[2:3]
	;; [unrolled: 1-line block ×4, first 2 shown]
	v_add_f64 v[7:8], v[7:8], v[59:60]
	v_add_f64 v[59:60], v[61:62], v[63:64]
	;; [unrolled: 1-line block ×3, first 2 shown]
	v_fma_f64 v[61:62], v[20:21], s[14:15], v[65:66]
	v_fma_f64 v[63:64], v[9:10], s[12:13], v[67:68]
	;; [unrolled: 1-line block ×4, first 2 shown]
	v_add_f64 v[9:10], v[57:58], v[46:47]
	v_fma_f64 v[20:21], v[7:8], s[10:11], v[61:62]
	v_fma_f64 v[57:58], v[59:60], s[10:11], v[63:64]
	;; [unrolled: 1-line block ×4, first 2 shown]
	v_lshlrev_b32_sdwa v7, v4, v53 dst_sel:DWORD dst_unused:UNUSED_PAD src0_sel:DWORD src1_sel:WORD_0
	v_lshlrev_b32_sdwa v4, v4, v54 dst_sel:DWORD dst_unused:UNUSED_PAD src0_sel:DWORD src1_sel:WORD_0
	v_add3_u32 v4, 0, v7, v4
	ds_write2_b64 v4, v[9:10], v[57:58] offset1:6
	ds_write2_b64 v4, v[5:6], v[20:21] offset0:12 offset1:18
	ds_write_b64 v4, v[2:3] offset:192
.LBB0_31:
	s_or_b32 exec_lo, exec_lo, s1
	v_add_f64 v[2:3], v[24:25], v[26:27]
	v_add_f64 v[4:5], v[44:45], v[36:37]
	;; [unrolled: 1-line block ×3, first 2 shown]
	v_add_f64 v[8:9], v[32:33], -v[34:35]
	v_add_f64 v[10:11], v[28:29], -v[30:31]
	v_add_f64 v[20:21], v[36:37], -v[26:27]
	v_add_f64 v[28:29], v[24:25], -v[44:45]
	v_add_f64 v[30:31], v[26:27], -v[36:37]
	s_waitcnt lgkmcnt(0)
	s_barrier
	buffer_gl0_inv
	v_fma_f64 v[2:3], v[2:3], -0.5, v[0:1]
	v_fma_f64 v[0:1], v[4:5], -0.5, v[0:1]
	v_add_f64 v[4:5], v[44:45], -v[24:25]
	v_add_f64 v[6:7], v[6:7], v[24:25]
	v_fma_f64 v[24:25], v[8:9], s[6:7], v[2:3]
	v_fma_f64 v[32:33], v[10:11], s[4:5], v[0:1]
	v_fma_f64 v[0:1], v[10:11], s[6:7], v[0:1]
	v_fma_f64 v[2:3], v[8:9], s[4:5], v[2:3]
	v_add_f64 v[4:5], v[4:5], v[20:21]
	v_add_f64 v[20:21], v[28:29], v[30:31]
	;; [unrolled: 1-line block ×3, first 2 shown]
	v_fma_f64 v[27:28], v[10:11], s[14:15], v[24:25]
	v_fma_f64 v[29:30], v[8:9], s[14:15], v[32:33]
	;; [unrolled: 1-line block ×4, first 2 shown]
	v_lshl_add_u32 v24, v51, 3, 0
	v_add_nc_u32_e32 v25, 0x1a00, v56
	v_add_f64 v[31:32], v[6:7], v[36:37]
	ds_read2_b64 v[0:3], v56 offset1:210
	v_add_nc_u32_e32 v26, 0xc00, v24
	v_fma_f64 v[27:28], v[4:5], s[10:11], v[27:28]
	v_fma_f64 v[29:30], v[20:21], s[10:11], v[29:30]
	;; [unrolled: 1-line block ×4, first 2 shown]
	ds_read_b64 v[20:21], v56 offset:10080
	ds_read2_b64 v[4:7], v25 offset0:8 offset1:218
	ds_read2_b64 v[8:11], v26 offset0:36 offset1:246
	s_waitcnt lgkmcnt(0)
	s_barrier
	buffer_gl0_inv
	ds_write2_b64 v55, v[31:32], v[27:28] offset1:6
	ds_write2_b64 v55, v[29:30], v[33:34] offset0:12 offset1:18
	ds_write_b64 v55, v[35:36] offset:192
	s_and_saveexec_b32 s1, s0
	s_cbranch_execz .LBB0_33
; %bb.32:
	v_add_f64 v[27:28], v[40:41], v[22:23]
	v_add_f64 v[29:30], v[14:15], v[16:17]
	;; [unrolled: 1-line block ×3, first 2 shown]
	v_add_f64 v[18:19], v[18:19], -v[46:47]
	v_add_f64 v[33:34], v[38:39], -v[42:43]
	s_mov_b32 s4, 0x134454ff
	s_mov_b32 s5, 0xbfee6f0e
	;; [unrolled: 1-line block ×4, first 2 shown]
	v_add_f64 v[35:36], v[16:17], -v[22:23]
	v_add_f64 v[37:38], v[22:23], -v[16:17]
	v_fma_f64 v[27:28], v[27:28], -0.5, v[12:13]
	v_fma_f64 v[12:13], v[29:30], -0.5, v[12:13]
	v_add_f64 v[29:30], v[14:15], -v[40:41]
	v_add_f64 v[14:15], v[40:41], -v[14:15]
	v_add_f64 v[31:32], v[31:32], v[40:41]
	v_fma_f64 v[39:40], v[18:19], s[4:5], v[27:28]
	v_fma_f64 v[41:42], v[33:34], s[6:7], v[12:13]
	;; [unrolled: 1-line block ×4, first 2 shown]
	s_mov_b32 s4, 0x4755a5e
	s_mov_b32 s5, 0xbfe2cf23
	;; [unrolled: 1-line block ×4, first 2 shown]
	v_add_f64 v[29:30], v[29:30], v[35:36]
	v_add_f64 v[22:23], v[31:32], v[22:23]
	;; [unrolled: 1-line block ×3, first 2 shown]
	v_fma_f64 v[31:32], v[33:34], s[4:5], v[39:40]
	v_fma_f64 v[35:36], v[18:19], s[4:5], v[41:42]
	;; [unrolled: 1-line block ×4, first 2 shown]
	s_mov_b32 s4, 0x372fe950
	s_mov_b32 s5, 0x3fd3c6ef
	v_add_f64 v[16:17], v[22:23], v[16:17]
	v_fma_f64 v[22:23], v[29:30], s[4:5], v[31:32]
	v_fma_f64 v[27:28], v[14:15], s[4:5], v[35:36]
	;; [unrolled: 1-line block ×4, first 2 shown]
	v_mov_b32_e32 v18, 3
	v_lshlrev_b32_sdwa v19, v18, v53 dst_sel:DWORD dst_unused:UNUSED_PAD src0_sel:DWORD src1_sel:WORD_0
	v_lshlrev_b32_sdwa v18, v18, v54 dst_sel:DWORD dst_unused:UNUSED_PAD src0_sel:DWORD src1_sel:WORD_0
	v_add3_u32 v18, 0, v19, v18
	ds_write2_b64 v18, v[16:17], v[22:23] offset1:6
	ds_write2_b64 v18, v[27:28], v[12:13] offset0:12 offset1:18
	ds_write_b64 v18, v[14:15] offset:192
.LBB0_33:
	s_or_b32 exec_lo, exec_lo, s1
	v_mul_lo_u16 v12, 0x89, v52
	v_mov_b32_e32 v13, 6
	s_waitcnt lgkmcnt(0)
	s_barrier
	buffer_gl0_inv
	v_lshrrev_b16 v47, 12, v12
	s_mov_b32 s6, 0x37e14327
	s_mov_b32 s14, 0xe976ee23
	s_mov_b32 s7, 0x3fe948f6
	s_mov_b32 s4, 0x36b3c0b5
	v_mul_lo_u16 v12, v47, 30
	s_mov_b32 s15, 0xbfe11646
	s_mov_b32 s0, 0x429ad128
	;; [unrolled: 1-line block ×4, first 2 shown]
	v_sub_nc_u16 v73, v51, v12
	s_mov_b32 s10, 0xaaaaaaaa
	s_mov_b32 s22, 0xb247c609
	;; [unrolled: 1-line block ×4, first 2 shown]
	v_mul_u32_u24_sdwa v12, v73, v13 dst_sel:DWORD dst_unused:UNUSED_PAD src0_sel:BYTE_0 src1_sel:DWORD
	s_mov_b32 s23, 0x3fd5d0dc
	s_mov_b32 s13, 0x3fe77f67
	;; [unrolled: 1-line block ×4, first 2 shown]
	v_lshlrev_b32_e32 v22, 4, v12
	s_mov_b32 s16, s12
	s_mov_b32 s20, s22
	s_mov_b32 s18, 0x37c3f68c
	s_mov_b32 s19, 0x3fdc38aa
	s_clause 0x5
	global_load_dwordx4 v[12:15], v22, s[8:9] offset:448
	global_load_dwordx4 v[16:19], v22, s[8:9] offset:464
	global_load_dwordx4 v[27:30], v22, s[8:9] offset:528
	global_load_dwordx4 v[31:34], v22, s[8:9] offset:512
	global_load_dwordx4 v[35:38], v22, s[8:9] offset:480
	global_load_dwordx4 v[39:42], v22, s[8:9] offset:496
	ds_read2_b64 v[43:46], v56 offset1:210
	ds_read2_b64 v[52:55], v26 offset0:36 offset1:246
	ds_read_b64 v[22:23], v56 offset:10080
	ds_read2_b64 v[57:60], v25 offset0:8 offset1:218
	s_waitcnt vmcnt(0) lgkmcnt(0)
	s_barrier
	buffer_gl0_inv
	v_mul_f64 v[61:62], v[45:46], v[14:15]
	v_mul_f64 v[63:64], v[52:53], v[18:19]
	;; [unrolled: 1-line block ×12, first 2 shown]
	v_fma_f64 v[2:3], v[2:3], v[12:13], -v[61:62]
	v_fma_f64 v[8:9], v[8:9], v[16:17], -v[63:64]
	;; [unrolled: 1-line block ×4, first 2 shown]
	v_fma_f64 v[12:13], v[45:46], v[12:13], v[14:15]
	v_fma_f64 v[14:15], v[52:53], v[16:17], v[18:19]
	v_fma_f64 v[10:11], v[10:11], v[35:36], -v[69:70]
	v_fma_f64 v[16:17], v[22:23], v[27:28], v[29:30]
	v_fma_f64 v[18:19], v[59:60], v[31:32], v[33:34]
	;; [unrolled: 1-line block ×3, first 2 shown]
	v_fma_f64 v[4:5], v[4:5], v[39:40], -v[71:72]
	v_fma_f64 v[27:28], v[57:58], v[39:40], v[41:42]
	v_add_f64 v[29:30], v[2:3], v[20:21]
	v_add_f64 v[31:32], v[8:9], v[6:7]
	v_add_f64 v[6:7], v[8:9], -v[6:7]
	v_add_f64 v[2:3], v[2:3], -v[20:21]
	v_add_f64 v[33:34], v[12:13], v[16:17]
	v_add_f64 v[35:36], v[14:15], v[18:19]
	v_add_f64 v[14:15], v[14:15], -v[18:19]
	v_add_f64 v[18:19], v[10:11], v[4:5]
	v_add_f64 v[37:38], v[27:28], -v[22:23]
	v_add_f64 v[12:13], v[12:13], -v[16:17]
	v_add_f64 v[22:23], v[22:23], v[27:28]
	v_add_f64 v[4:5], v[4:5], -v[10:11]
	v_add_f64 v[16:17], v[31:32], v[29:30]
	;; [unrolled: 2-line block ×3, first 2 shown]
	v_add_f64 v[10:11], v[29:30], -v[18:19]
	v_add_f64 v[20:21], v[37:38], -v[14:15]
	;; [unrolled: 1-line block ×5, first 2 shown]
	v_add_f64 v[14:15], v[37:38], v[14:15]
	v_add_f64 v[45:46], v[4:5], -v[6:7]
	v_add_f64 v[37:38], v[12:13], -v[37:38]
	;; [unrolled: 1-line block ×4, first 2 shown]
	v_add_f64 v[6:7], v[4:5], v[6:7]
	v_add_f64 v[4:5], v[2:3], -v[4:5]
	v_add_f64 v[16:17], v[18:19], v[16:17]
	v_add_f64 v[18:19], v[18:19], -v[31:32]
	v_add_f64 v[8:9], v[22:23], v[8:9]
	v_mul_f64 v[10:11], v[10:11], s[6:7]
	v_mul_f64 v[20:21], v[20:21], s[14:15]
	;; [unrolled: 1-line block ×5, first 2 shown]
	v_add_f64 v[12:13], v[14:15], v[12:13]
	v_mul_f64 v[14:15], v[45:46], s[14:15]
	v_mul_f64 v[45:46], v[52:53], s[0:1]
	v_add_f64 v[2:3], v[6:7], v[2:3]
	v_add_f64 v[0:1], v[0:1], v[16:17]
	v_mul_f64 v[31:32], v[18:19], s[4:5]
	v_add_f64 v[43:44], v[43:44], v[8:9]
	v_fma_f64 v[18:19], v[18:19], s[4:5], v[10:11]
	v_fma_f64 v[54:55], v[37:38], s[22:23], v[20:21]
	v_fma_f64 v[20:21], v[27:28], s[0:1], -v[20:21]
	v_fma_f64 v[22:23], v[37:38], s[20:21], -v[22:23]
	v_fma_f64 v[10:11], v[29:30], s[16:17], -v[10:11]
	v_fma_f64 v[6:7], v[41:42], s[4:5], v[35:36]
	v_mov_b32_e32 v37, 0x690
	v_fma_f64 v[16:17], v[16:17], s[10:11], v[0:1]
	v_fma_f64 v[27:28], v[29:30], s[12:13], -v[31:32]
	v_fma_f64 v[29:30], v[33:34], s[12:13], -v[39:40]
	;; [unrolled: 1-line block ×3, first 2 shown]
	v_fma_f64 v[33:34], v[4:5], s[22:23], v[14:15]
	v_fma_f64 v[14:15], v[52:53], s[0:1], -v[14:15]
	v_fma_f64 v[4:5], v[4:5], s[20:21], -v[45:46]
	v_fma_f64 v[8:9], v[8:9], s[10:11], v[43:44]
	v_fma_f64 v[35:36], v[12:13], s[18:19], v[54:55]
	;; [unrolled: 1-line block ×4, first 2 shown]
	v_add_f64 v[18:19], v[18:19], v[16:17]
	v_add_f64 v[10:11], v[10:11], v[16:17]
	;; [unrolled: 1-line block ×3, first 2 shown]
	v_fma_f64 v[22:23], v[2:3], s[18:19], v[33:34]
	v_fma_f64 v[14:15], v[2:3], s[18:19], v[14:15]
	;; [unrolled: 1-line block ×3, first 2 shown]
	v_add_f64 v[4:5], v[6:7], v[8:9]
	v_add_f64 v[6:7], v[31:32], v[8:9]
	;; [unrolled: 1-line block ×3, first 2 shown]
	v_mov_b32_e32 v33, 3
	v_add_f64 v[27:28], v[35:36], v[18:19]
	v_add_f64 v[29:30], v[12:13], v[10:11]
	v_add_f64 v[31:32], v[16:17], -v[20:21]
	v_add_f64 v[16:17], v[20:21], v[16:17]
	v_add_f64 v[10:11], v[10:11], -v[12:13]
	v_add_f64 v[12:13], v[18:19], -v[35:36]
	v_mul_u32_u24_sdwa v18, v47, v37 dst_sel:DWORD dst_unused:UNUSED_PAD src0_sel:WORD_0 src1_sel:DWORD
	v_lshlrev_b32_sdwa v19, v33, v73 dst_sel:DWORD dst_unused:UNUSED_PAD src0_sel:DWORD src1_sel:BYTE_0
	v_add_f64 v[20:21], v[6:7], -v[2:3]
	v_add_f64 v[33:34], v[14:15], v[8:9]
	v_add_f64 v[14:15], v[8:9], -v[14:15]
	v_add_f64 v[35:36], v[2:3], v[6:7]
	v_add3_u32 v37, 0, v18, v19
	v_add_f64 v[18:19], v[4:5], -v[22:23]
	v_add_f64 v[22:23], v[22:23], v[4:5]
	ds_write2_b64 v37, v[0:1], v[27:28] offset1:30
	ds_write2_b64 v37, v[29:30], v[31:32] offset0:60 offset1:90
	ds_write2_b64 v37, v[16:17], v[10:11] offset0:120 offset1:150
	ds_write_b64 v37, v[12:13] offset:1440
	s_waitcnt lgkmcnt(0)
	s_barrier
	buffer_gl0_inv
	ds_read2_b64 v[0:3], v56 offset1:210
	ds_read2_b64 v[4:7], v26 offset0:36 offset1:246
	ds_read2_b64 v[8:11], v25 offset0:8 offset1:218
	ds_read_b64 v[12:13], v56 offset:10080
	s_waitcnt lgkmcnt(0)
	s_barrier
	buffer_gl0_inv
	ds_write2_b64 v37, v[43:44], v[18:19] offset1:30
	ds_write2_b64 v37, v[20:21], v[33:34] offset0:60 offset1:90
	ds_write2_b64 v37, v[14:15], v[35:36] offset0:120 offset1:150
	ds_write_b64 v37, v[22:23] offset:1440
	s_waitcnt lgkmcnt(0)
	s_barrier
	buffer_gl0_inv
	s_and_saveexec_b32 s24, vcc_lo
	s_cbranch_execz .LBB0_35
; %bb.34:
	v_mul_u32_u24_e32 v14, 6, v51
	v_lshlrev_b32_e32 v14, 4, v14
	v_add_co_u32 v14, s8, s8, v14
	v_add_co_ci_u32_e64 v15, null, s9, 0, s8
	v_add_co_u32 v22, vcc_lo, 0xd00, v14
	v_add_co_ci_u32_e32 v23, vcc_lo, 0, v15, vcc_lo
	v_add_co_u32 v25, vcc_lo, 0x800, v14
	v_add_co_ci_u32_e32 v26, vcc_lo, 0, v15, vcc_lo
	;; [unrolled: 2-line block ×3, first 2 shown]
	s_clause 0x5
	global_load_dwordx4 v[14:17], v[22:23], off offset:16
	global_load_dwordx4 v[18:21], v[25:26], off offset:1344
	;; [unrolled: 1-line block ×6, first 2 shown]
	v_add_nc_u32_e32 v22, 0xc00, v24
	v_add_nc_u32_e32 v23, 0x1a00, v56
	ds_read2_b64 v[41:44], v22 offset0:36 offset1:246
	ds_read2_b64 v[51:54], v23 offset0:8 offset1:218
	ds_read2_b64 v[57:60], v56 offset1:210
	ds_read_b64 v[22:23], v56 offset:10080
	s_waitcnt vmcnt(5) lgkmcnt(3)
	v_mul_f64 v[45:46], v[41:42], v[16:17]
	s_waitcnt vmcnt(4) lgkmcnt(2)
	v_mul_f64 v[55:56], v[53:54], v[20:21]
	v_mul_f64 v[16:17], v[4:5], v[16:17]
	v_mul_f64 v[20:21], v[10:11], v[20:21]
	s_waitcnt vmcnt(3)
	v_mul_f64 v[61:62], v[2:3], v[27:28]
	s_waitcnt vmcnt(2)
	v_mul_f64 v[63:64], v[12:13], v[31:32]
	s_waitcnt lgkmcnt(1)
	v_mul_f64 v[27:28], v[59:60], v[27:28]
	s_waitcnt lgkmcnt(0)
	v_mul_f64 v[31:32], v[22:23], v[31:32]
	s_waitcnt vmcnt(1)
	v_mul_f64 v[65:66], v[51:52], v[35:36]
	s_waitcnt vmcnt(0)
	v_mul_f64 v[67:68], v[43:44], v[39:40]
	v_mul_f64 v[39:40], v[6:7], v[39:40]
	;; [unrolled: 1-line block ×3, first 2 shown]
	v_fma_f64 v[4:5], v[4:5], v[14:15], -v[45:46]
	v_fma_f64 v[10:11], v[10:11], v[18:19], -v[55:56]
	v_fma_f64 v[14:15], v[14:15], v[41:42], v[16:17]
	v_fma_f64 v[16:17], v[18:19], v[53:54], v[20:21]
	;; [unrolled: 1-line block ×4, first 2 shown]
	v_fma_f64 v[2:3], v[2:3], v[25:26], -v[27:28]
	v_fma_f64 v[12:13], v[12:13], v[29:30], -v[31:32]
	;; [unrolled: 1-line block ×4, first 2 shown]
	v_fma_f64 v[22:23], v[37:38], v[43:44], v[39:40]
	v_fma_f64 v[24:25], v[33:34], v[51:52], v[35:36]
	v_mov_b32_e32 v51, 0
	v_add_f64 v[30:31], v[4:5], v[10:11]
	v_add_f64 v[4:5], v[4:5], -v[10:11]
	v_add_f64 v[26:27], v[14:15], v[16:17]
	v_add_f64 v[14:15], v[14:15], -v[16:17]
	;; [unrolled: 2-line block ×4, first 2 shown]
	v_add_f64 v[34:35], v[8:9], -v[6:7]
	v_add_f64 v[6:7], v[8:9], v[6:7]
	v_add_f64 v[10:11], v[24:25], v[22:23]
	v_add_f64 v[8:9], v[24:25], -v[22:23]
	v_add_f64 v[2:3], v[26:27], v[28:29]
	v_add_f64 v[42:43], v[14:15], -v[18:19]
	;; [unrolled: 2-line block ×3, first 2 shown]
	v_add_f64 v[20:21], v[34:35], -v[4:5]
	v_add_f64 v[24:25], v[32:33], -v[6:7]
	;; [unrolled: 1-line block ×4, first 2 shown]
	v_add_f64 v[4:5], v[34:35], v[4:5]
	v_add_f64 v[34:35], v[12:13], -v[34:35]
	v_add_f64 v[14:15], v[8:9], v[14:15]
	v_add_f64 v[8:9], v[18:19], -v[8:9]
	;; [unrolled: 2-line block ×4, first 2 shown]
	v_mul_f64 v[20:21], v[20:21], s[14:15]
	v_mul_f64 v[24:25], v[24:25], s[6:7]
	;; [unrolled: 1-line block ×4, first 2 shown]
	v_add_f64 v[26:27], v[26:27], -v[28:29]
	v_mul_f64 v[44:45], v[38:39], s[0:1]
	v_mul_f64 v[46:47], v[42:43], s[0:1]
	v_add_f64 v[30:31], v[30:31], -v[32:33]
	v_add_f64 v[4:5], v[4:5], v[12:13]
	v_add_f64 v[12:13], v[14:15], v[18:19]
	;; [unrolled: 1-line block ×3, first 2 shown]
	v_mul_f64 v[28:29], v[10:11], s[4:5]
	v_add_f64 v[0:1], v[0:1], v[16:17]
	v_mul_f64 v[32:33], v[6:7], s[4:5]
	v_fma_f64 v[14:15], v[34:35], s[22:23], v[20:21]
	v_fma_f64 v[6:7], v[6:7], s[4:5], v[24:25]
	;; [unrolled: 1-line block ×4, first 2 shown]
	v_fma_f64 v[20:21], v[38:39], s[0:1], -v[20:21]
	v_fma_f64 v[22:23], v[26:27], s[16:17], -v[22:23]
	;; [unrolled: 1-line block ×5, first 2 shown]
	v_fma_f64 v[38:39], v[40:41], s[10:11], v[2:3]
	v_fma_f64 v[26:27], v[26:27], s[12:13], -v[28:29]
	v_fma_f64 v[16:17], v[16:17], s[10:11], v[0:1]
	v_fma_f64 v[28:29], v[42:43], s[0:1], -v[36:37]
	v_fma_f64 v[30:31], v[30:31], s[12:13], -v[32:33]
	v_fma_f64 v[32:33], v[4:5], s[18:19], v[14:15]
	v_add_co_u32 v42, vcc_lo, s2, v48
	v_fma_f64 v[36:37], v[12:13], s[18:19], v[18:19]
	v_fma_f64 v[18:19], v[4:5], s[18:19], v[20:21]
	;; [unrolled: 1-line block ×4, first 2 shown]
	v_lshlrev_b64 v[4:5], 4, v[50:51]
	v_add_co_ci_u32_e32 v43, vcc_lo, s3, v49, vcc_lo
	v_add_f64 v[20:21], v[10:11], v[38:39]
	v_add_f64 v[26:27], v[26:27], v[38:39]
	;; [unrolled: 1-line block ×4, first 2 shown]
	v_fma_f64 v[12:13], v[12:13], s[18:19], v[28:29]
	v_add_f64 v[28:29], v[24:25], v[16:17]
	v_add_f64 v[30:31], v[30:31], v[16:17]
	v_add_co_u32 v38, vcc_lo, v42, v4
	v_add_co_ci_u32_e32 v39, vcc_lo, v43, v5, vcc_lo
	v_add_co_u32 v42, vcc_lo, 0x800, v38
	v_add_co_ci_u32_e32 v43, vcc_lo, 0, v39, vcc_lo
	;; [unrolled: 2-line block ×3, first 2 shown]
	v_add_f64 v[6:7], v[32:33], v[20:21]
	v_add_f64 v[14:15], v[26:27], -v[18:19]
	v_add_f64 v[18:19], v[18:19], v[26:27]
	v_add_f64 v[26:27], v[20:21], -v[32:33]
	v_add_f64 v[24:25], v[36:37], v[40:41]
	v_add_f64 v[10:11], v[34:35], v[22:23]
	v_add_f64 v[22:23], v[22:23], -v[34:35]
	v_add_f64 v[20:21], v[8:9], v[28:29]
	v_add_f64 v[16:17], v[30:31], -v[12:13]
	;; [unrolled: 2-line block ×3, first 2 shown]
	v_add_f64 v[4:5], v[40:41], -v[36:37]
	v_add_co_u32 v28, vcc_lo, 0x2000, v38
	v_add_co_ci_u32_e32 v29, vcc_lo, 0, v39, vcc_lo
	v_add_co_u32 v30, vcc_lo, 0x3000, v38
	v_add_co_ci_u32_e32 v31, vcc_lo, 0, v39, vcc_lo
	;; [unrolled: 2-line block ×4, first 2 shown]
	global_store_dwordx4 v[38:39], v[0:3], off
	global_store_dwordx4 v[42:43], v[24:27], off offset:1312
	global_store_dwordx4 v[44:45], v[20:23], off offset:576
	;; [unrolled: 1-line block ×6, first 2 shown]
.LBB0_35:
	s_endpgm
	.section	.rodata,"a",@progbits
	.p2align	6, 0x0
	.amdhsa_kernel fft_rtc_fwd_len1470_factors_2_3_5_7_7_wgs_210_tpt_210_halfLds_dp_ip_CI_unitstride_sbrr_dirReg
		.amdhsa_group_segment_fixed_size 0
		.amdhsa_private_segment_fixed_size 0
		.amdhsa_kernarg_size 88
		.amdhsa_user_sgpr_count 6
		.amdhsa_user_sgpr_private_segment_buffer 1
		.amdhsa_user_sgpr_dispatch_ptr 0
		.amdhsa_user_sgpr_queue_ptr 0
		.amdhsa_user_sgpr_kernarg_segment_ptr 1
		.amdhsa_user_sgpr_dispatch_id 0
		.amdhsa_user_sgpr_flat_scratch_init 0
		.amdhsa_user_sgpr_private_segment_size 0
		.amdhsa_wavefront_size32 1
		.amdhsa_uses_dynamic_stack 0
		.amdhsa_system_sgpr_private_segment_wavefront_offset 0
		.amdhsa_system_sgpr_workgroup_id_x 1
		.amdhsa_system_sgpr_workgroup_id_y 0
		.amdhsa_system_sgpr_workgroup_id_z 0
		.amdhsa_system_sgpr_workgroup_info 0
		.amdhsa_system_vgpr_workitem_id 0
		.amdhsa_next_free_vgpr 89
		.amdhsa_next_free_sgpr 25
		.amdhsa_reserve_vcc 1
		.amdhsa_reserve_flat_scratch 0
		.amdhsa_float_round_mode_32 0
		.amdhsa_float_round_mode_16_64 0
		.amdhsa_float_denorm_mode_32 3
		.amdhsa_float_denorm_mode_16_64 3
		.amdhsa_dx10_clamp 1
		.amdhsa_ieee_mode 1
		.amdhsa_fp16_overflow 0
		.amdhsa_workgroup_processor_mode 1
		.amdhsa_memory_ordered 1
		.amdhsa_forward_progress 0
		.amdhsa_shared_vgpr_count 0
		.amdhsa_exception_fp_ieee_invalid_op 0
		.amdhsa_exception_fp_denorm_src 0
		.amdhsa_exception_fp_ieee_div_zero 0
		.amdhsa_exception_fp_ieee_overflow 0
		.amdhsa_exception_fp_ieee_underflow 0
		.amdhsa_exception_fp_ieee_inexact 0
		.amdhsa_exception_int_div_zero 0
	.end_amdhsa_kernel
	.text
.Lfunc_end0:
	.size	fft_rtc_fwd_len1470_factors_2_3_5_7_7_wgs_210_tpt_210_halfLds_dp_ip_CI_unitstride_sbrr_dirReg, .Lfunc_end0-fft_rtc_fwd_len1470_factors_2_3_5_7_7_wgs_210_tpt_210_halfLds_dp_ip_CI_unitstride_sbrr_dirReg
                                        ; -- End function
	.section	.AMDGPU.csdata,"",@progbits
; Kernel info:
; codeLenInByte = 7376
; NumSgprs: 27
; NumVgprs: 89
; ScratchSize: 0
; MemoryBound: 1
; FloatMode: 240
; IeeeMode: 1
; LDSByteSize: 0 bytes/workgroup (compile time only)
; SGPRBlocks: 3
; VGPRBlocks: 11
; NumSGPRsForWavesPerEU: 27
; NumVGPRsForWavesPerEU: 89
; Occupancy: 10
; WaveLimiterHint : 1
; COMPUTE_PGM_RSRC2:SCRATCH_EN: 0
; COMPUTE_PGM_RSRC2:USER_SGPR: 6
; COMPUTE_PGM_RSRC2:TRAP_HANDLER: 0
; COMPUTE_PGM_RSRC2:TGID_X_EN: 1
; COMPUTE_PGM_RSRC2:TGID_Y_EN: 0
; COMPUTE_PGM_RSRC2:TGID_Z_EN: 0
; COMPUTE_PGM_RSRC2:TIDIG_COMP_CNT: 0
	.text
	.p2alignl 6, 3214868480
	.fill 48, 4, 3214868480
	.type	__hip_cuid_933960bd838b113f,@object ; @__hip_cuid_933960bd838b113f
	.section	.bss,"aw",@nobits
	.globl	__hip_cuid_933960bd838b113f
__hip_cuid_933960bd838b113f:
	.byte	0                               ; 0x0
	.size	__hip_cuid_933960bd838b113f, 1

	.ident	"AMD clang version 19.0.0git (https://github.com/RadeonOpenCompute/llvm-project roc-6.4.0 25133 c7fe45cf4b819c5991fe208aaa96edf142730f1d)"
	.section	".note.GNU-stack","",@progbits
	.addrsig
	.addrsig_sym __hip_cuid_933960bd838b113f
	.amdgpu_metadata
---
amdhsa.kernels:
  - .args:
      - .actual_access:  read_only
        .address_space:  global
        .offset:         0
        .size:           8
        .value_kind:     global_buffer
      - .offset:         8
        .size:           8
        .value_kind:     by_value
      - .actual_access:  read_only
        .address_space:  global
        .offset:         16
        .size:           8
        .value_kind:     global_buffer
      - .actual_access:  read_only
        .address_space:  global
        .offset:         24
        .size:           8
        .value_kind:     global_buffer
      - .offset:         32
        .size:           8
        .value_kind:     by_value
      - .actual_access:  read_only
        .address_space:  global
        .offset:         40
        .size:           8
        .value_kind:     global_buffer
      - .actual_access:  read_only
        .address_space:  global
        .offset:         48
        .size:           8
        .value_kind:     global_buffer
      - .offset:         56
        .size:           4
        .value_kind:     by_value
      - .actual_access:  read_only
        .address_space:  global
        .offset:         64
        .size:           8
        .value_kind:     global_buffer
      - .actual_access:  read_only
        .address_space:  global
        .offset:         72
        .size:           8
        .value_kind:     global_buffer
      - .address_space:  global
        .offset:         80
        .size:           8
        .value_kind:     global_buffer
    .group_segment_fixed_size: 0
    .kernarg_segment_align: 8
    .kernarg_segment_size: 88
    .language:       OpenCL C
    .language_version:
      - 2
      - 0
    .max_flat_workgroup_size: 210
    .name:           fft_rtc_fwd_len1470_factors_2_3_5_7_7_wgs_210_tpt_210_halfLds_dp_ip_CI_unitstride_sbrr_dirReg
    .private_segment_fixed_size: 0
    .sgpr_count:     27
    .sgpr_spill_count: 0
    .symbol:         fft_rtc_fwd_len1470_factors_2_3_5_7_7_wgs_210_tpt_210_halfLds_dp_ip_CI_unitstride_sbrr_dirReg.kd
    .uniform_work_group_size: 1
    .uses_dynamic_stack: false
    .vgpr_count:     89
    .vgpr_spill_count: 0
    .wavefront_size: 32
    .workgroup_processor_mode: 1
amdhsa.target:   amdgcn-amd-amdhsa--gfx1030
amdhsa.version:
  - 1
  - 2
...

	.end_amdgpu_metadata
